;; amdgpu-corpus repo=ROCm/rocFFT kind=compiled arch=gfx906 opt=O3
	.text
	.amdgcn_target "amdgcn-amd-amdhsa--gfx906"
	.amdhsa_code_object_version 6
	.protected	fft_rtc_fwd_len1728_factors_3_6_6_16_wgs_108_tpt_108_halfLds_sp_ip_CI_sbrr_dirReg ; -- Begin function fft_rtc_fwd_len1728_factors_3_6_6_16_wgs_108_tpt_108_halfLds_sp_ip_CI_sbrr_dirReg
	.globl	fft_rtc_fwd_len1728_factors_3_6_6_16_wgs_108_tpt_108_halfLds_sp_ip_CI_sbrr_dirReg
	.p2align	8
	.type	fft_rtc_fwd_len1728_factors_3_6_6_16_wgs_108_tpt_108_halfLds_sp_ip_CI_sbrr_dirReg,@function
fft_rtc_fwd_len1728_factors_3_6_6_16_wgs_108_tpt_108_halfLds_sp_ip_CI_sbrr_dirReg: ; @fft_rtc_fwd_len1728_factors_3_6_6_16_wgs_108_tpt_108_halfLds_sp_ip_CI_sbrr_dirReg
; %bb.0:
	s_load_dwordx2 s[2:3], s[4:5], 0x18
	s_load_dwordx4 s[8:11], s[4:5], 0x0
	s_load_dwordx2 s[14:15], s[4:5], 0x50
	v_mul_u32_u24_e32 v1, 0x25f, v0
	v_add_u32_sdwa v5, s6, v1 dst_sel:DWORD dst_unused:UNUSED_PAD src0_sel:DWORD src1_sel:WORD_1
	s_waitcnt lgkmcnt(0)
	s_load_dwordx2 s[12:13], s[2:3], 0x0
	v_cmp_lt_u64_e64 s[0:1], s[10:11], 2
	v_mov_b32_e32 v3, 0
	v_mov_b32_e32 v1, 0
	;; [unrolled: 1-line block ×3, first 2 shown]
	s_and_b64 vcc, exec, s[0:1]
	v_mov_b32_e32 v2, 0
	s_cbranch_vccnz .LBB0_8
; %bb.1:
	s_load_dwordx2 s[0:1], s[4:5], 0x10
	s_add_u32 s6, s2, 8
	s_addc_u32 s7, s3, 0
	v_mov_b32_e32 v1, 0
	v_mov_b32_e32 v2, 0
	s_waitcnt lgkmcnt(0)
	s_add_u32 s16, s0, 8
	s_addc_u32 s17, s1, 0
	s_mov_b64 s[18:19], 1
.LBB0_2:                                ; =>This Inner Loop Header: Depth=1
	s_load_dwordx2 s[20:21], s[16:17], 0x0
                                        ; implicit-def: $vgpr7_vgpr8
	s_waitcnt lgkmcnt(0)
	v_or_b32_e32 v4, s21, v6
	v_cmp_ne_u64_e32 vcc, 0, v[3:4]
	s_and_saveexec_b64 s[0:1], vcc
	s_xor_b64 s[22:23], exec, s[0:1]
	s_cbranch_execz .LBB0_4
; %bb.3:                                ;   in Loop: Header=BB0_2 Depth=1
	v_cvt_f32_u32_e32 v4, s20
	v_cvt_f32_u32_e32 v7, s21
	s_sub_u32 s0, 0, s20
	s_subb_u32 s1, 0, s21
	v_mac_f32_e32 v4, 0x4f800000, v7
	v_rcp_f32_e32 v4, v4
	v_mul_f32_e32 v4, 0x5f7ffffc, v4
	v_mul_f32_e32 v7, 0x2f800000, v4
	v_trunc_f32_e32 v7, v7
	v_mac_f32_e32 v4, 0xcf800000, v7
	v_cvt_u32_f32_e32 v7, v7
	v_cvt_u32_f32_e32 v4, v4
	v_mul_lo_u32 v8, s0, v7
	v_mul_hi_u32 v9, s0, v4
	v_mul_lo_u32 v11, s1, v4
	v_mul_lo_u32 v10, s0, v4
	v_add_u32_e32 v8, v9, v8
	v_add_u32_e32 v8, v8, v11
	v_mul_hi_u32 v9, v4, v10
	v_mul_lo_u32 v11, v4, v8
	v_mul_hi_u32 v13, v4, v8
	v_mul_hi_u32 v12, v7, v10
	v_mul_lo_u32 v10, v7, v10
	v_mul_hi_u32 v14, v7, v8
	v_add_co_u32_e32 v9, vcc, v9, v11
	v_addc_co_u32_e32 v11, vcc, 0, v13, vcc
	v_mul_lo_u32 v8, v7, v8
	v_add_co_u32_e32 v9, vcc, v9, v10
	v_addc_co_u32_e32 v9, vcc, v11, v12, vcc
	v_addc_co_u32_e32 v10, vcc, 0, v14, vcc
	v_add_co_u32_e32 v8, vcc, v9, v8
	v_addc_co_u32_e32 v9, vcc, 0, v10, vcc
	v_add_co_u32_e32 v4, vcc, v4, v8
	v_addc_co_u32_e32 v7, vcc, v7, v9, vcc
	v_mul_lo_u32 v8, s0, v7
	v_mul_hi_u32 v9, s0, v4
	v_mul_lo_u32 v10, s1, v4
	v_mul_lo_u32 v11, s0, v4
	v_add_u32_e32 v8, v9, v8
	v_add_u32_e32 v8, v8, v10
	v_mul_lo_u32 v12, v4, v8
	v_mul_hi_u32 v13, v4, v11
	v_mul_hi_u32 v14, v4, v8
	;; [unrolled: 1-line block ×3, first 2 shown]
	v_mul_lo_u32 v11, v7, v11
	v_mul_hi_u32 v9, v7, v8
	v_add_co_u32_e32 v12, vcc, v13, v12
	v_addc_co_u32_e32 v13, vcc, 0, v14, vcc
	v_mul_lo_u32 v8, v7, v8
	v_add_co_u32_e32 v11, vcc, v12, v11
	v_addc_co_u32_e32 v10, vcc, v13, v10, vcc
	v_addc_co_u32_e32 v9, vcc, 0, v9, vcc
	v_add_co_u32_e32 v8, vcc, v10, v8
	v_addc_co_u32_e32 v9, vcc, 0, v9, vcc
	v_add_co_u32_e32 v4, vcc, v4, v8
	v_addc_co_u32_e32 v9, vcc, v7, v9, vcc
	v_mad_u64_u32 v[7:8], s[0:1], v5, v9, 0
	v_mul_hi_u32 v10, v5, v4
	v_add_co_u32_e32 v11, vcc, v10, v7
	v_addc_co_u32_e32 v12, vcc, 0, v8, vcc
	v_mad_u64_u32 v[7:8], s[0:1], v6, v4, 0
	v_mad_u64_u32 v[9:10], s[0:1], v6, v9, 0
	v_add_co_u32_e32 v4, vcc, v11, v7
	v_addc_co_u32_e32 v4, vcc, v12, v8, vcc
	v_addc_co_u32_e32 v7, vcc, 0, v10, vcc
	v_add_co_u32_e32 v4, vcc, v4, v9
	v_addc_co_u32_e32 v9, vcc, 0, v7, vcc
	v_mul_lo_u32 v10, s21, v4
	v_mul_lo_u32 v11, s20, v9
	v_mad_u64_u32 v[7:8], s[0:1], s20, v4, 0
	v_add3_u32 v8, v8, v11, v10
	v_sub_u32_e32 v10, v6, v8
	v_mov_b32_e32 v11, s21
	v_sub_co_u32_e32 v7, vcc, v5, v7
	v_subb_co_u32_e64 v10, s[0:1], v10, v11, vcc
	v_subrev_co_u32_e64 v11, s[0:1], s20, v7
	v_subbrev_co_u32_e64 v10, s[0:1], 0, v10, s[0:1]
	v_cmp_le_u32_e64 s[0:1], s21, v10
	v_cndmask_b32_e64 v12, 0, -1, s[0:1]
	v_cmp_le_u32_e64 s[0:1], s20, v11
	v_cndmask_b32_e64 v11, 0, -1, s[0:1]
	v_cmp_eq_u32_e64 s[0:1], s21, v10
	v_cndmask_b32_e64 v10, v12, v11, s[0:1]
	v_add_co_u32_e64 v11, s[0:1], 2, v4
	v_addc_co_u32_e64 v12, s[0:1], 0, v9, s[0:1]
	v_add_co_u32_e64 v13, s[0:1], 1, v4
	v_addc_co_u32_e64 v14, s[0:1], 0, v9, s[0:1]
	v_subb_co_u32_e32 v8, vcc, v6, v8, vcc
	v_cmp_ne_u32_e64 s[0:1], 0, v10
	v_cmp_le_u32_e32 vcc, s21, v8
	v_cndmask_b32_e64 v10, v14, v12, s[0:1]
	v_cndmask_b32_e64 v12, 0, -1, vcc
	v_cmp_le_u32_e32 vcc, s20, v7
	v_cndmask_b32_e64 v7, 0, -1, vcc
	v_cmp_eq_u32_e32 vcc, s21, v8
	v_cndmask_b32_e32 v7, v12, v7, vcc
	v_cmp_ne_u32_e32 vcc, 0, v7
	v_cndmask_b32_e64 v7, v13, v11, s[0:1]
	v_cndmask_b32_e32 v8, v9, v10, vcc
	v_cndmask_b32_e32 v7, v4, v7, vcc
.LBB0_4:                                ;   in Loop: Header=BB0_2 Depth=1
	s_andn2_saveexec_b64 s[0:1], s[22:23]
	s_cbranch_execz .LBB0_6
; %bb.5:                                ;   in Loop: Header=BB0_2 Depth=1
	v_cvt_f32_u32_e32 v4, s20
	s_sub_i32 s22, 0, s20
	v_rcp_iflag_f32_e32 v4, v4
	v_mul_f32_e32 v4, 0x4f7ffffe, v4
	v_cvt_u32_f32_e32 v4, v4
	v_mul_lo_u32 v7, s22, v4
	v_mul_hi_u32 v7, v4, v7
	v_add_u32_e32 v4, v4, v7
	v_mul_hi_u32 v4, v5, v4
	v_mul_lo_u32 v7, v4, s20
	v_add_u32_e32 v8, 1, v4
	v_sub_u32_e32 v7, v5, v7
	v_subrev_u32_e32 v9, s20, v7
	v_cmp_le_u32_e32 vcc, s20, v7
	v_cndmask_b32_e32 v7, v7, v9, vcc
	v_cndmask_b32_e32 v4, v4, v8, vcc
	v_add_u32_e32 v8, 1, v4
	v_cmp_le_u32_e32 vcc, s20, v7
	v_cndmask_b32_e32 v7, v4, v8, vcc
	v_mov_b32_e32 v8, v3
.LBB0_6:                                ;   in Loop: Header=BB0_2 Depth=1
	s_or_b64 exec, exec, s[0:1]
	v_mul_lo_u32 v4, v8, s20
	v_mul_lo_u32 v11, v7, s21
	v_mad_u64_u32 v[9:10], s[0:1], v7, s20, 0
	s_load_dwordx2 s[0:1], s[6:7], 0x0
	s_add_u32 s18, s18, 1
	v_add3_u32 v4, v10, v11, v4
	v_sub_co_u32_e32 v5, vcc, v5, v9
	v_subb_co_u32_e32 v4, vcc, v6, v4, vcc
	s_waitcnt lgkmcnt(0)
	v_mul_lo_u32 v4, s0, v4
	v_mul_lo_u32 v6, s1, v5
	v_mad_u64_u32 v[1:2], s[0:1], s0, v5, v[1:2]
	s_addc_u32 s19, s19, 0
	s_add_u32 s6, s6, 8
	v_add3_u32 v2, v6, v2, v4
	v_mov_b32_e32 v4, s10
	v_mov_b32_e32 v5, s11
	s_addc_u32 s7, s7, 0
	v_cmp_ge_u64_e32 vcc, s[18:19], v[4:5]
	s_add_u32 s16, s16, 8
	s_addc_u32 s17, s17, 0
	s_cbranch_vccnz .LBB0_9
; %bb.7:                                ;   in Loop: Header=BB0_2 Depth=1
	v_mov_b32_e32 v5, v7
	v_mov_b32_e32 v6, v8
	s_branch .LBB0_2
.LBB0_8:
	v_mov_b32_e32 v8, v6
	v_mov_b32_e32 v7, v5
.LBB0_9:
	s_lshl_b64 s[0:1], s[10:11], 3
	s_add_u32 s0, s2, s0
	s_addc_u32 s1, s3, s1
	s_load_dwordx2 s[2:3], s[0:1], 0x0
	s_load_dwordx2 s[6:7], s[4:5], 0x20
                                        ; implicit-def: $sgpr4
                                        ; implicit-def: $vgpr53
                                        ; implicit-def: $vgpr52
                                        ; implicit-def: $vgpr50
                                        ; implicit-def: $vgpr51
	s_waitcnt lgkmcnt(0)
	v_mad_u64_u32 v[1:2], s[0:1], s2, v7, v[1:2]
	s_mov_b32 s0, 0x25ed098
	v_mul_lo_u32 v3, s2, v8
	v_mul_lo_u32 v4, s3, v7
	v_mul_hi_u32 v5, v0, s0
	v_cmp_gt_u64_e32 vcc, s[6:7], v[7:8]
	v_cmp_le_u64_e64 s[0:1], s[6:7], v[7:8]
	v_add3_u32 v2, v4, v2, v3
	v_mul_u32_u24_e32 v3, 0x6c, v5
	v_sub_u32_e32 v49, v0, v3
	s_and_saveexec_b64 s[2:3], s[0:1]
	s_xor_b64 s[0:1], exec, s[2:3]
; %bb.10:
	v_add_u32_e32 v53, 0x6c, v49
	v_add_u32_e32 v52, 0xd8, v49
	;; [unrolled: 1-line block ×4, first 2 shown]
	s_mov_b32 s4, 0
; %bb.11:
	s_or_saveexec_b64 s[2:3], s[0:1]
	v_lshlrev_b64 v[0:1], 3, v[1:2]
	v_mov_b32_e32 v48, s4
                                        ; implicit-def: $vgpr7
                                        ; implicit-def: $vgpr31
                                        ; implicit-def: $vgpr33
                                        ; implicit-def: $vgpr9
                                        ; implicit-def: $vgpr27
                                        ; implicit-def: $vgpr29
                                        ; implicit-def: $vgpr11
                                        ; implicit-def: $vgpr23
                                        ; implicit-def: $vgpr25
                                        ; implicit-def: $vgpr13
                                        ; implicit-def: $vgpr17
                                        ; implicit-def: $vgpr21
                                        ; implicit-def: $vgpr3
                                        ; implicit-def: $vgpr15
                                        ; implicit-def: $vgpr19
                                        ; implicit-def: $vgpr37
                                        ; implicit-def: $vgpr35
                                        ; implicit-def: $vgpr5
	s_xor_b64 exec, exec, s[2:3]
	s_cbranch_execz .LBB0_15
; %bb.12:
	v_mad_u64_u32 v[2:3], s[0:1], s12, v49, 0
	v_add_u32_e32 v9, 0x240, v49
	v_mad_u64_u32 v[6:7], s[0:1], s12, v9, 0
	v_mad_u64_u32 v[3:4], s[0:1], s13, v49, v[3:4]
	v_mov_b32_e32 v8, s15
	v_add_co_u32_e64 v5, s[0:1], s14, v0
	v_mov_b32_e32 v4, v7
	v_addc_co_u32_e64 v35, s[0:1], v8, v1, s[0:1]
	v_mad_u64_u32 v[7:8], s[0:1], s13, v9, v[4:5]
	v_or_b32_e32 v10, 0x480, v49
	v_mad_u64_u32 v[8:9], s[0:1], s12, v10, 0
	v_lshlrev_b64 v[2:3], 3, v[2:3]
	v_add_u32_e32 v53, 0x6c, v49
	v_add_co_u32_e64 v36, s[0:1], v5, v2
	v_mov_b32_e32 v4, v9
	v_addc_co_u32_e64 v37, s[0:1], v35, v3, s[0:1]
	v_lshlrev_b64 v[2:3], 3, v[6:7]
	v_mad_u64_u32 v[6:7], s[0:1], s13, v10, v[4:5]
	v_mad_u64_u32 v[10:11], s[0:1], s12, v53, 0
	v_add_co_u32_e64 v38, s[0:1], v5, v2
	v_mov_b32_e32 v9, v6
	v_mov_b32_e32 v4, v11
	v_addc_co_u32_e64 v39, s[0:1], v35, v3, s[0:1]
	v_lshlrev_b64 v[2:3], 3, v[8:9]
	v_mad_u64_u32 v[6:7], s[0:1], s13, v53, v[4:5]
	v_add_u32_e32 v9, 0x2ac, v49
	v_mad_u64_u32 v[7:8], s[0:1], s12, v9, 0
	v_add_co_u32_e64 v40, s[0:1], v5, v2
	v_mov_b32_e32 v4, v8
	v_addc_co_u32_e64 v41, s[0:1], v35, v3, s[0:1]
	v_mov_b32_e32 v11, v6
	v_mad_u64_u32 v[8:9], s[0:1], s13, v9, v[4:5]
	v_add_u32_e32 v6, 0x4ec, v49
	v_lshlrev_b64 v[2:3], 3, v[10:11]
	v_mad_u64_u32 v[9:10], s[0:1], s12, v6, 0
	v_add_co_u32_e64 v42, s[0:1], v5, v2
	v_mov_b32_e32 v4, v10
	v_addc_co_u32_e64 v43, s[0:1], v35, v3, s[0:1]
	v_lshlrev_b64 v[2:3], 3, v[7:8]
	v_mad_u64_u32 v[6:7], s[0:1], s13, v6, v[4:5]
	v_add_u32_e32 v52, 0xd8, v49
	v_mad_u64_u32 v[7:8], s[0:1], s12, v52, 0
	v_add_co_u32_e64 v44, s[0:1], v5, v2
	v_mov_b32_e32 v10, v6
	v_mov_b32_e32 v4, v8
	v_addc_co_u32_e64 v45, s[0:1], v35, v3, s[0:1]
	v_lshlrev_b64 v[2:3], 3, v[9:10]
	v_mad_u64_u32 v[8:9], s[0:1], s13, v52, v[4:5]
	v_add_u32_e32 v6, 0x318, v49
	v_mad_u64_u32 v[9:10], s[0:1], s12, v6, 0
	v_add_co_u32_e64 v46, s[0:1], v5, v2
	v_mov_b32_e32 v4, v10
	v_addc_co_u32_e64 v47, s[0:1], v35, v3, s[0:1]
	v_lshlrev_b64 v[2:3], 3, v[7:8]
	v_mad_u64_u32 v[6:7], s[0:1], s13, v6, v[4:5]
	v_add_u32_e32 v11, 0x558, v49
	v_mad_u64_u32 v[7:8], s[0:1], s12, v11, 0
	v_add_co_u32_e64 v54, s[0:1], v5, v2
	v_mov_b32_e32 v10, v6
	v_mov_b32_e32 v4, v8
	v_addc_co_u32_e64 v55, s[0:1], v35, v3, s[0:1]
	v_lshlrev_b64 v[2:3], 3, v[9:10]
	v_mad_u64_u32 v[8:9], s[0:1], s13, v11, v[4:5]
	v_add_u32_e32 v50, 0x144, v49
	;; [unrolled: 15-line block ×4, first 2 shown]
	v_mad_u64_u32 v[9:10], s[0:1], s12, v6, 0
	v_add_co_u32_e64 v64, s[0:1], v5, v2
	v_mov_b32_e32 v4, v10
	v_addc_co_u32_e64 v65, s[0:1], v35, v3, s[0:1]
	v_lshlrev_b64 v[2:3], 3, v[7:8]
	v_mad_u64_u32 v[6:7], s[0:1], s13, v6, v[4:5]
	v_add_u32_e32 v11, 0x630, v49
	v_mad_u64_u32 v[7:8], s[0:1], s12, v11, 0
	v_add_co_u32_e64 v66, s[0:1], v5, v2
	v_mov_b32_e32 v10, v6
	v_mov_b32_e32 v4, v8
	v_addc_co_u32_e64 v67, s[0:1], v35, v3, s[0:1]
	v_lshlrev_b64 v[2:3], 3, v[9:10]
	v_mad_u64_u32 v[8:9], s[0:1], s13, v11, v[4:5]
	v_add_co_u32_e64 v68, s[0:1], v5, v2
	v_addc_co_u32_e64 v69, s[0:1], v35, v3, s[0:1]
	v_lshlrev_b64 v[2:3], 3, v[7:8]
                                        ; implicit-def: $vgpr4
                                        ; implicit-def: $vgpr34
	v_add_co_u32_e64 v70, s[0:1], v5, v2
	v_addc_co_u32_e64 v71, s[0:1], v35, v3, s[0:1]
	global_load_dwordx2 v[6:7], v[36:37], off
	global_load_dwordx2 v[30:31], v[38:39], off
	;; [unrolled: 1-line block ×15, first 2 shown]
	v_cmp_gt_u32_e64 s[0:1], 36, v49
                                        ; implicit-def: $vgpr36
	s_and_saveexec_b64 s[4:5], s[0:1]
	s_cbranch_execz .LBB0_14
; %bb.13:
	v_add_u32_e32 v34, 0x21c, v49
	v_mad_u64_u32 v[36:37], s[0:1], s12, v34, 0
	v_add_u32_e32 v42, 0x45c, v49
	v_mad_u64_u32 v[38:39], s[0:1], s12, v42, 0
	v_mov_b32_e32 v4, v37
	v_mad_u64_u32 v[40:41], s[0:1], s13, v34, v[4:5]
	v_mov_b32_e32 v4, v39
	v_add_u32_e32 v34, 0x69c, v49
	v_mov_b32_e32 v37, v40
	v_mad_u64_u32 v[39:40], s[0:1], s13, v42, v[4:5]
	v_mad_u64_u32 v[40:41], s[0:1], s12, v34, 0
	v_lshlrev_b64 v[36:37], 3, v[36:37]
	v_add_co_u32_e64 v42, s[0:1], v5, v36
	v_mov_b32_e32 v4, v41
	v_addc_co_u32_e64 v43, s[0:1], v35, v37, s[0:1]
	v_lshlrev_b64 v[36:37], 3, v[38:39]
	v_mad_u64_u32 v[38:39], s[0:1], s13, v34, v[4:5]
	v_add_co_u32_e64 v44, s[0:1], v5, v36
	v_mov_b32_e32 v41, v38
	v_addc_co_u32_e64 v45, s[0:1], v35, v37, s[0:1]
	v_lshlrev_b64 v[36:37], 3, v[40:41]
	v_add_co_u32_e64 v38, s[0:1], v5, v36
	v_addc_co_u32_e64 v39, s[0:1], v35, v37, s[0:1]
	global_load_dwordx2 v[4:5], v[42:43], off
	global_load_dwordx2 v[34:35], v[44:45], off
	global_load_dwordx2 v[36:37], v[38:39], off
.LBB0_14:
	s_or_b64 exec, exec, s[4:5]
	v_mov_b32_e32 v48, v49
.LBB0_15:
	s_or_b64 exec, exec, s[2:3]
	s_waitcnt vmcnt(12)
	v_add_f32_e32 v39, v30, v32
	v_add_f32_e32 v38, v6, v30
	v_fmac_f32_e32 v6, -0.5, v39
	v_sub_f32_e32 v39, v31, v33
	v_mov_b32_e32 v40, v6
	v_add_f32_e32 v38, v38, v32
	v_fmac_f32_e32 v40, 0x3f5db3d7, v39
	v_fmac_f32_e32 v6, 0xbf5db3d7, v39
	v_mad_u32_u24 v63, v49, 12, 0
	s_waitcnt vmcnt(9)
	v_add_f32_e32 v39, v26, v28
	ds_write2_b32 v63, v38, v40 offset1:1
	v_add_f32_e32 v38, v8, v26
	v_fmac_f32_e32 v8, -0.5, v39
	v_sub_f32_e32 v39, v27, v29
	v_mov_b32_e32 v40, v8
	v_add_f32_e32 v38, v38, v28
	v_fmac_f32_e32 v40, 0x3f5db3d7, v39
	v_mad_i32_i24 v62, v53, 12, 0
	ds_write_b32 v63, v6 offset:8
	ds_write2_b32 v62, v38, v40 offset1:1
	s_waitcnt vmcnt(6)
	v_add_f32_e32 v38, v22, v24
	v_add_f32_e32 v6, v10, v22
	v_fmac_f32_e32 v10, -0.5, v38
	v_fmac_f32_e32 v8, 0xbf5db3d7, v39
	v_sub_f32_e32 v38, v23, v25
	v_mov_b32_e32 v39, v10
	v_add_f32_e32 v6, v6, v24
	v_fmac_f32_e32 v39, 0x3f5db3d7, v38
	ds_write_b32 v62, v8 offset:8
	v_mad_i32_i24 v61, v52, 12, 0
	s_waitcnt vmcnt(3)
	v_add_f32_e32 v8, v16, v20
	ds_write2_b32 v61, v6, v39 offset1:1
	v_add_f32_e32 v6, v12, v16
	v_fmac_f32_e32 v12, -0.5, v8
	v_fmac_f32_e32 v10, 0xbf5db3d7, v38
	v_sub_f32_e32 v8, v17, v21
	v_mov_b32_e32 v38, v12
	v_add_f32_e32 v6, v6, v20
	v_fmac_f32_e32 v38, 0x3f5db3d7, v8
	ds_write_b32 v61, v10 offset:8
	v_mad_i32_i24 v10, v50, 12, 0
	v_fmac_f32_e32 v12, 0xbf5db3d7, v8
	s_waitcnt vmcnt(0)
	v_add_f32_e32 v8, v14, v18
	ds_write2_b32 v10, v6, v38 offset1:1
	v_add_f32_e32 v6, v2, v14
	v_fmac_f32_e32 v2, -0.5, v8
	v_sub_f32_e32 v8, v15, v19
	v_mov_b32_e32 v60, v2
	v_add_f32_e32 v38, v36, v34
	v_fmac_f32_e32 v60, 0x3f5db3d7, v8
	v_fmac_f32_e32 v2, 0xbf5db3d7, v8
	v_add_f32_e32 v8, v34, v4
	v_fmac_f32_e32 v4, -0.5, v38
	v_sub_f32_e32 v38, v35, v37
	v_mov_b32_e32 v58, v4
	v_fmac_f32_e32 v58, 0x3f5db3d7, v38
	v_fmac_f32_e32 v4, 0xbf5db3d7, v38
	v_add_f32_e32 v55, v6, v18
	v_mad_i32_i24 v6, v51, 12, 0
	v_add_f32_e32 v59, v36, v8
	v_cmp_gt_u32_e64 s[2:3], 36, v49
	ds_write_b32 v10, v12 offset:8
	ds_write2_b32 v6, v55, v60 offset1:1
	ds_write_b32 v6, v2 offset:8
	s_and_saveexec_b64 s[0:1], s[2:3]
	s_cbranch_execz .LBB0_17
; %bb.16:
	v_add_u32_e32 v6, 0x1950, v63
	ds_write2_b32 v6, v59, v58 offset1:1
	ds_write_b32 v63, v4 offset:6488
.LBB0_17:
	s_or_b64 exec, exec, s[0:1]
	v_lshlrev_b32_e32 v8, 3, v49
	v_sub_u32_e32 v54, v63, v8
	v_add_u32_e32 v8, 0x400, v54
	s_waitcnt lgkmcnt(0)
	s_barrier
	ds_read2_b32 v[46:47], v8 offset0:32 offset1:140
	v_add_u32_e32 v8, 0x800, v54
	ds_read2_b32 v[44:45], v8 offset0:64 offset1:172
	v_add_u32_e32 v8, 0xc00, v54
	;; [unrolled: 2-line block ×4, first 2 shown]
	v_lshlrev_b32_e32 v10, 3, v53
	ds_read2_b32 v[38:39], v8 offset0:32 offset1:140
	v_sub_u32_e32 v8, v62, v10
	ds_read_b32 v57, v54
	ds_read_b32 v56, v8
	s_movk_i32 s0, 0x48
	v_mul_i32_i24_e32 v6, 12, v50
	v_mul_i32_i24_e32 v8, 12, v51
	v_cmp_gt_u32_e64 s[0:1], s0, v49
	v_lshlrev_b32_e32 v64, 3, v52
	s_and_saveexec_b64 s[4:5], s[0:1]
	s_cbranch_execz .LBB0_19
; %bb.18:
	v_sub_u32_e32 v4, v61, v64
	ds_read_b32 v60, v54 offset:2016
	ds_read_b32 v2, v54 offset:3168
	;; [unrolled: 1-line block ×4, first 2 shown]
	ds_read_b32 v55, v4
	ds_read_b32 v4, v54 offset:6624
.LBB0_19:
	s_or_b64 exec, exec, s[4:5]
	v_add_f32_e32 v12, v31, v33
	v_sub_u32_e32 v65, 0, v10
	v_add_f32_e32 v10, v7, v31
	v_fmac_f32_e32 v7, -0.5, v12
	v_sub_f32_e32 v12, v30, v32
	v_mov_b32_e32 v30, v7
	v_fmac_f32_e32 v30, 0xbf5db3d7, v12
	v_fmac_f32_e32 v7, 0x3f5db3d7, v12
	v_add_f32_e32 v12, v9, v27
	v_add_f32_e32 v27, v27, v29
	v_fmac_f32_e32 v9, -0.5, v27
	v_sub_f32_e32 v26, v26, v28
	v_mov_b32_e32 v27, v9
	v_fmac_f32_e32 v27, 0xbf5db3d7, v26
	v_fmac_f32_e32 v9, 0x3f5db3d7, v26
	v_add_f32_e32 v26, v11, v23
	v_add_f32_e32 v23, v23, v25
	v_fmac_f32_e32 v11, -0.5, v23
	v_add_f32_e32 v28, v26, v25
	v_sub_f32_e32 v22, v22, v24
	v_mov_b32_e32 v25, v11
	v_fmac_f32_e32 v25, 0xbf5db3d7, v22
	v_fmac_f32_e32 v11, 0x3f5db3d7, v22
	v_add_f32_e32 v22, v13, v17
	v_add_f32_e32 v17, v17, v21
	v_fmac_f32_e32 v13, -0.5, v17
	v_sub_f32_e32 v16, v16, v20
	v_mov_b32_e32 v17, v13
	v_fmac_f32_e32 v17, 0xbf5db3d7, v16
	v_fmac_f32_e32 v13, 0x3f5db3d7, v16
	v_add_f32_e32 v16, v3, v15
	v_add_f32_e32 v15, v15, v19
	v_fmac_f32_e32 v3, -0.5, v15
	v_sub_f32_e32 v14, v14, v18
	v_mov_b32_e32 v26, v3
	v_fmac_f32_e32 v26, 0xbf5db3d7, v14
	v_fmac_f32_e32 v3, 0x3f5db3d7, v14
	v_add_f32_e32 v14, v35, v5
	v_add_f32_e32 v24, v37, v14
	;; [unrolled: 1-line block ×3, first 2 shown]
	v_fmac_f32_e32 v5, -0.5, v14
	v_add_f32_e32 v10, v10, v33
	v_add_f32_e32 v22, v22, v21
	v_sub_f32_e32 v14, v34, v36
	v_mov_b32_e32 v23, v5
	v_add_u32_e32 v6, 0, v6
	v_add_f32_e32 v12, v12, v29
	v_add_f32_e32 v16, v16, v19
	v_fmac_f32_e32 v23, 0xbf5db3d7, v14
	v_fmac_f32_e32 v5, 0x3f5db3d7, v14
	s_waitcnt lgkmcnt(0)
	s_barrier
	ds_write2_b32 v63, v10, v30 offset1:1
	ds_write_b32 v63, v7 offset:8
	ds_write2_b32 v62, v12, v27 offset1:1
	ds_write_b32 v62, v9 offset:8
	ds_write2_b32 v61, v28, v25 offset1:1
	ds_write_b32 v61, v11 offset:8
	ds_write2_b32 v6, v22, v17 offset1:1
	ds_write_b32 v6, v13 offset:8
	v_add_u32_e32 v6, 0, v8
	ds_write2_b32 v6, v16, v26 offset1:1
	ds_write_b32 v6, v3 offset:8
	s_and_saveexec_b64 s[4:5], s[2:3]
	s_cbranch_execz .LBB0_21
; %bb.20:
	v_add_u32_e32 v6, 0x21c, v49
	v_mad_u32_u24 v6, v6, 12, 0
	ds_write2_b32 v6, v24, v23 offset1:1
	ds_write_b32 v6, v5 offset:8
.LBB0_21:
	s_or_b64 exec, exec, s[4:5]
	v_add_u32_e32 v6, 0x400, v54
	s_waitcnt lgkmcnt(0)
	s_barrier
	ds_read2_b32 v[14:15], v6 offset0:32 offset1:140
	v_add_u32_e32 v6, 0x800, v54
	ds_read2_b32 v[12:13], v6 offset0:64 offset1:172
	v_add_u32_e32 v6, 0xc00, v54
	;; [unrolled: 2-line block ×5, first 2 shown]
	ds_read_b32 v18, v54
	ds_read_b32 v17, v22
	s_and_saveexec_b64 s[2:3], s[0:1]
	s_cbranch_execz .LBB0_23
; %bb.22:
	v_sub_u32_e32 v5, v61, v64
	ds_read_b32 v26, v54 offset:2016
	ds_read_b32 v3, v54 offset:3168
	;; [unrolled: 1-line block ×4, first 2 shown]
	ds_read_b32 v16, v5
	ds_read_b32 v5, v54 offset:6624
.LBB0_23:
	s_or_b64 exec, exec, s[2:3]
	s_movk_i32 s2, 0xab
	v_mul_lo_u16_sdwa v19, v49, s2 dst_sel:DWORD dst_unused:UNUSED_PAD src0_sel:BYTE_0 src1_sel:DWORD
	v_lshrrev_b16_e32 v67, 9, v19
	v_mul_lo_u16_e32 v19, 3, v67
	v_sub_u16_e32 v68, v49, v19
	v_mov_b32_e32 v61, 5
	v_mul_u32_u24_sdwa v19, v68, v61 dst_sel:DWORD dst_unused:UNUSED_PAD src0_sel:BYTE_0 src1_sel:DWORD
	v_lshlrev_b32_e32 v19, 3, v19
	global_load_dwordx2 v[36:37], v19, s[8:9] offset:32
	global_load_dwordx4 v[28:31], v19, s[8:9] offset:16
	global_load_dwordx4 v[32:35], v19, s[8:9]
	s_waitcnt vmcnt(2)
	v_mul_f32_e32 v25, v38, v37
	s_waitcnt lgkmcnt(2)
	v_fmac_f32_e32 v25, v6, v36
	s_waitcnt vmcnt(0)
	v_mul_f32_e32 v20, v46, v33
	v_mul_f32_e32 v21, v44, v35
	;; [unrolled: 1-line block ×3, first 2 shown]
	v_fmac_f32_e32 v20, v14, v32
	v_mul_f32_e32 v14, v12, v35
	v_fmac_f32_e32 v21, v12, v34
	v_mul_f32_e32 v12, v10, v29
	v_fma_f32 v14, v44, v34, -v14
	v_fma_f32 v34, v42, v28, -v12
	v_mul_f32_e32 v12, v42, v29
	v_mul_f32_e32 v29, v40, v31
	v_fmac_f32_e32 v12, v10, v28
	v_mul_f32_e32 v10, v8, v31
	v_fmac_f32_e32 v29, v8, v30
	v_mul_f32_e32 v8, v6, v37
	v_mul_lo_u16_sdwa v6, v53, s2 dst_sel:DWORD dst_unused:UNUSED_PAD src0_sel:BYTE_0 src1_sel:DWORD
	v_lshrrev_b16_e32 v69, 9, v6
	v_mul_lo_u16_e32 v6, 3, v69
	v_sub_u16_e32 v70, v53, v6
	v_mul_u32_u24_sdwa v6, v70, v61 dst_sel:DWORD dst_unused:UNUSED_PAD src0_sel:BYTE_0 src1_sel:DWORD
	v_lshlrev_b32_e32 v6, 3, v6
	v_fma_f32 v19, v46, v32, -v19
	v_fma_f32 v27, v40, v30, -v10
	global_load_dwordx2 v[65:66], v6, s[8:9] offset:32
	global_load_dwordx4 v[30:33], v6, s[8:9] offset:16
	global_load_dwordx4 v[61:64], v6, s[8:9]
	v_fma_f32 v28, v38, v36, -v8
	s_mov_b32 s2, 0xaaab
	s_waitcnt vmcnt(2)
	v_mul_f32_e32 v38, v39, v66
	v_fmac_f32_e32 v38, v7, v65
	s_waitcnt vmcnt(0)
	v_mul_f32_e32 v6, v15, v62
	v_fma_f32 v35, v47, v61, -v6
	v_mul_f32_e32 v36, v47, v62
	v_mul_f32_e32 v6, v13, v64
	v_fmac_f32_e32 v36, v15, v61
	v_fma_f32 v15, v45, v63, -v6
	v_mul_f32_e32 v37, v45, v64
	v_mul_f32_e32 v6, v11, v31
	v_fmac_f32_e32 v37, v13, v63
	v_fma_f32 v63, v43, v30, -v6
	v_mul_f32_e32 v6, v9, v33
	v_fma_f32 v40, v41, v32, -v6
	v_mul_f32_e32 v6, v7, v66
	v_fma_f32 v64, v39, v65, -v6
	v_mul_u32_u24_sdwa v6, v52, s2 dst_sel:DWORD dst_unused:UNUSED_PAD src0_sel:WORD_0 src1_sel:DWORD
	v_lshrrev_b32_e32 v66, 17, v6
	v_mul_lo_u16_e32 v6, 3, v66
	v_sub_u16_e32 v71, v52, v6
	v_mul_u32_u24_e32 v6, 5, v71
	v_mul_f32_e32 v13, v43, v31
	v_mul_f32_e32 v41, v41, v33
	v_lshlrev_b32_e32 v39, 3, v6
	v_fmac_f32_e32 v13, v11, v30
	v_fmac_f32_e32 v41, v9, v32
	global_load_dwordx2 v[10:11], v39, s[8:9] offset:32
	global_load_dwordx4 v[6:9], v39, s[8:9] offset:16
	global_load_dwordx4 v[30:33], v39, s[8:9]
	v_mul_lo_u16_e32 v66, 18, v66
	s_waitcnt vmcnt(0) lgkmcnt(0)
	s_barrier
	v_mul_f32_e32 v47, v58, v9
	v_mul_f32_e32 v42, v60, v31
	;; [unrolled: 1-line block ×4, first 2 shown]
	v_fmac_f32_e32 v42, v26, v30
	v_mul_f32_e32 v26, v3, v33
	v_fmac_f32_e32 v44, v3, v32
	v_mul_f32_e32 v3, v23, v9
	v_fma_f32 v46, v58, v8, -v3
	v_mul_f32_e32 v58, v4, v11
	v_mul_f32_e32 v3, v5, v11
	v_fmac_f32_e32 v58, v5, v10
	v_add_f32_e32 v5, v14, v27
	v_fma_f32 v43, v2, v32, -v26
	v_mul_f32_e32 v2, v24, v7
	v_mul_f32_e32 v45, v59, v7
	v_fma_f32 v3, v4, v10, -v3
	v_add_f32_e32 v4, v57, v14
	v_fmac_f32_e32 v57, -0.5, v5
	v_fma_f32 v2, v59, v6, -v2
	v_fmac_f32_e32 v45, v24, v6
	v_sub_f32_e32 v5, v21, v29
	v_mov_b32_e32 v6, v57
	v_add_f32_e32 v7, v34, v28
	v_fmac_f32_e32 v6, 0x3f5db3d7, v5
	v_fmac_f32_e32 v57, 0xbf5db3d7, v5
	v_add_f32_e32 v5, v19, v34
	v_fmac_f32_e32 v19, -0.5, v7
	v_sub_f32_e32 v7, v12, v25
	v_mov_b32_e32 v59, v19
	v_fmac_f32_e32 v59, 0x3f5db3d7, v7
	v_fmac_f32_e32 v19, 0xbf5db3d7, v7
	v_add_f32_e32 v7, v12, v25
	v_fma_f32 v39, v60, v30, -v39
	v_fma_f32 v60, -0.5, v7, v20
	v_sub_f32_e32 v7, v34, v28
	v_mov_b32_e32 v61, v60
	v_fmac_f32_e32 v61, 0xbf5db3d7, v7
	v_fmac_f32_e32 v47, v23, v8
	;; [unrolled: 1-line block ×3, first 2 shown]
	v_mul_f32_e32 v8, 0x3f5db3d7, v61
	v_mul_f32_e32 v10, -0.5, v19
	v_add_f32_e32 v4, v4, v27
	v_add_f32_e32 v5, v5, v28
	v_fmac_f32_e32 v8, 0.5, v59
	v_fmac_f32_e32 v10, 0x3f5db3d7, v60
	v_add_f32_e32 v7, v4, v5
	v_add_f32_e32 v9, v6, v8
	v_add_f32_e32 v11, v57, v10
	v_sub_f32_e32 v4, v4, v5
	v_sub_f32_e32 v5, v6, v8
	;; [unrolled: 1-line block ×3, first 2 shown]
	v_add_f32_e32 v10, v15, v40
	v_add_f32_e32 v8, v56, v15
	v_fmac_f32_e32 v56, -0.5, v10
	v_sub_f32_e32 v10, v37, v41
	v_mov_b32_e32 v23, v56
	v_add_f32_e32 v24, v63, v64
	v_fmac_f32_e32 v23, 0x3f5db3d7, v10
	v_fmac_f32_e32 v56, 0xbf5db3d7, v10
	v_add_f32_e32 v10, v35, v63
	v_fmac_f32_e32 v35, -0.5, v24
	v_sub_f32_e32 v24, v13, v38
	v_mov_b32_e32 v57, v35
	v_fmac_f32_e32 v57, 0x3f5db3d7, v24
	v_fmac_f32_e32 v35, 0xbf5db3d7, v24
	v_add_f32_e32 v24, v13, v38
	v_fma_f32 v62, -0.5, v24, v36
	v_sub_f32_e32 v24, v63, v64
	v_mov_b32_e32 v63, v62
	v_fmac_f32_e32 v63, 0xbf5db3d7, v24
	v_fmac_f32_e32 v62, 0x3f5db3d7, v24
	v_mul_f32_e32 v24, 0x3f5db3d7, v63
	v_add_f32_e32 v8, v8, v40
	v_add_f32_e32 v10, v10, v64
	v_fmac_f32_e32 v24, 0.5, v57
	v_mul_f32_e32 v30, -0.5, v35
	v_add_f32_e32 v26, v8, v10
	v_add_f32_e32 v28, v23, v24
	v_fmac_f32_e32 v30, 0x3f5db3d7, v62
	v_sub_f32_e32 v8, v8, v10
	v_sub_f32_e32 v10, v23, v24
	v_add_f32_e32 v24, v55, v43
	v_add_f32_e32 v72, v56, v30
	v_sub_f32_e32 v23, v56, v30
	v_add_f32_e32 v30, v24, v46
	v_add_f32_e32 v24, v43, v46
	v_fmac_f32_e32 v55, -0.5, v24
	v_sub_f32_e32 v24, v44, v47
	v_mov_b32_e32 v31, v55
	v_fmac_f32_e32 v31, 0x3f5db3d7, v24
	v_fmac_f32_e32 v55, 0xbf5db3d7, v24
	v_add_f32_e32 v24, v39, v2
	v_add_f32_e32 v32, v24, v3
	;; [unrolled: 1-line block ×3, first 2 shown]
	v_fmac_f32_e32 v39, -0.5, v24
	v_sub_f32_e32 v24, v45, v58
	v_mov_b32_e32 v56, v39
	v_fmac_f32_e32 v56, 0x3f5db3d7, v24
	v_fmac_f32_e32 v39, 0xbf5db3d7, v24
	v_add_f32_e32 v24, v45, v58
	v_fma_f32 v64, -0.5, v24, v42
	v_sub_f32_e32 v2, v2, v3
	v_mov_b32_e32 v65, v64
	v_fmac_f32_e32 v65, 0xbf5db3d7, v2
	v_fmac_f32_e32 v64, 0x3f5db3d7, v2
	v_mul_f32_e32 v3, -0.5, v39
	v_mul_f32_e32 v2, 0x3f5db3d7, v65
	v_fmac_f32_e32 v3, 0x3f5db3d7, v64
	v_add_f32_e32 v24, v30, v32
	v_fmac_f32_e32 v2, 0.5, v56
	v_add_f32_e32 v33, v55, v3
	v_sub_f32_e32 v32, v30, v32
	v_sub_f32_e32 v30, v55, v3
	v_mov_b32_e32 v3, 2
	v_add_f32_e32 v34, v31, v2
	v_sub_f32_e32 v31, v31, v2
	v_mul_u32_u24_e32 v2, 0x48, v67
	v_lshlrev_b32_sdwa v55, v3, v68 dst_sel:DWORD dst_unused:UNUSED_PAD src0_sel:DWORD src1_sel:BYTE_0
	v_add3_u32 v55, 0, v2, v55
	v_mul_u32_u24_e32 v2, 0x48, v69
	v_lshlrev_b32_sdwa v3, v3, v70 dst_sel:DWORD dst_unused:UNUSED_PAD src0_sel:DWORD src1_sel:BYTE_0
	v_add3_u32 v68, 0, v2, v3
	v_lshlrev_b32_e32 v67, 2, v71
	ds_write2_b32 v55, v7, v9 offset1:3
	ds_write2_b32 v55, v11, v4 offset0:6 offset1:9
	ds_write2_b32 v55, v5, v6 offset0:12 offset1:15
	ds_write2_b32 v68, v26, v28 offset1:3
	ds_write2_b32 v68, v72, v8 offset0:6 offset1:9
	ds_write2_b32 v68, v10, v23 offset0:12 offset1:15
	s_and_saveexec_b64 s[2:3], s[0:1]
	s_cbranch_execz .LBB0_25
; %bb.24:
	v_lshlrev_b32_e32 v2, 2, v66
	v_add3_u32 v2, 0, v67, v2
	ds_write2_b32 v2, v24, v34 offset1:3
	ds_write2_b32 v2, v33, v32 offset0:6 offset1:9
	ds_write2_b32 v2, v31, v30 offset0:12 offset1:15
.LBB0_25:
	s_or_b64 exec, exec, s[2:3]
	v_add_u32_e32 v2, 0x400, v54
	s_waitcnt lgkmcnt(0)
	s_barrier
	ds_read2_b32 v[10:11], v2 offset0:32 offset1:140
	v_add_u32_e32 v2, 0x800, v54
	ds_read2_b32 v[8:9], v2 offset0:64 offset1:172
	v_add_u32_e32 v2, 0xc00, v54
	;; [unrolled: 2-line block ×4, first 2 shown]
	ds_read2_b32 v[2:3], v2 offset0:32 offset1:140
	ds_read_b32 v28, v54
	ds_read_b32 v26, v22
	v_lshl_add_u32 v23, v52, 2, 0
	s_and_saveexec_b64 s[2:3], s[0:1]
	s_cbranch_execz .LBB0_27
; %bb.26:
	ds_read_b32 v34, v54 offset:2016
	ds_read_b32 v33, v54 offset:3168
	;; [unrolled: 1-line block ×4, first 2 shown]
	ds_read_b32 v24, v23
	ds_read_b32 v30, v54 offset:6624
.LBB0_27:
	s_or_b64 exec, exec, s[2:3]
	v_add_f32_e32 v69, v18, v21
	v_add_f32_e32 v21, v21, v29
	;; [unrolled: 1-line block ×3, first 2 shown]
	v_fmac_f32_e32 v18, -0.5, v21
	v_sub_f32_e32 v14, v14, v27
	v_add_f32_e32 v12, v12, v25
	v_mul_f32_e32 v25, -0.5, v60
	v_mov_b32_e32 v21, v18
	v_fmac_f32_e32 v18, 0x3f5db3d7, v14
	v_mul_f32_e32 v20, 0xbf5db3d7, v59
	v_fmac_f32_e32 v25, 0xbf5db3d7, v19
	v_fmac_f32_e32 v21, 0xbf5db3d7, v14
	v_fmac_f32_e32 v20, 0.5, v61
	v_add_f32_e32 v19, v18, v25
	v_sub_f32_e32 v18, v18, v25
	v_add_f32_e32 v25, v37, v41
	v_add_f32_e32 v27, v21, v20
	v_sub_f32_e32 v20, v21, v20
	v_add_f32_e32 v21, v17, v37
	v_fmac_f32_e32 v17, -0.5, v25
	v_add_f32_e32 v69, v69, v29
	v_sub_f32_e32 v15, v15, v40
	v_mov_b32_e32 v25, v17
	v_add_f32_e32 v13, v36, v13
	v_mul_f32_e32 v29, 0xbf5db3d7, v57
	v_add_f32_e32 v21, v21, v41
	v_fmac_f32_e32 v25, 0xbf5db3d7, v15
	v_add_f32_e32 v13, v13, v38
	v_fmac_f32_e32 v29, 0.5, v63
	v_fmac_f32_e32 v17, 0x3f5db3d7, v15
	v_add_f32_e32 v15, v21, v13
	v_add_f32_e32 v41, v25, v29
	v_sub_f32_e32 v13, v21, v13
	v_sub_f32_e32 v21, v25, v29
	v_add_f32_e32 v25, v16, v44
	v_mul_f32_e32 v36, -0.5, v62
	v_add_f32_e32 v29, v25, v47
	v_add_f32_e32 v25, v44, v47
	v_fmac_f32_e32 v36, 0xbf5db3d7, v35
	v_fmac_f32_e32 v16, -0.5, v25
	v_add_f32_e32 v35, v17, v36
	v_sub_f32_e32 v17, v17, v36
	v_sub_f32_e32 v25, v43, v46
	v_mov_b32_e32 v36, v16
	v_fmac_f32_e32 v36, 0xbf5db3d7, v25
	v_fmac_f32_e32 v16, 0x3f5db3d7, v25
	v_add_f32_e32 v25, v42, v45
	v_mul_f32_e32 v42, 0xbf5db3d7, v56
	v_mul_f32_e32 v43, -0.5, v64
	v_add_f32_e32 v37, v25, v58
	v_fmac_f32_e32 v42, 0.5, v65
	v_fmac_f32_e32 v43, 0xbf5db3d7, v39
	v_add_f32_e32 v14, v69, v12
	v_add_f32_e32 v25, v29, v37
	;; [unrolled: 1-line block ×4, first 2 shown]
	v_sub_f32_e32 v38, v29, v37
	v_sub_f32_e32 v37, v36, v42
	;; [unrolled: 1-line block ×4, first 2 shown]
	s_waitcnt lgkmcnt(0)
	s_barrier
	ds_write2_b32 v55, v14, v27 offset1:3
	ds_write2_b32 v55, v19, v12 offset0:6 offset1:9
	ds_write2_b32 v55, v20, v18 offset0:12 offset1:15
	ds_write2_b32 v68, v15, v41 offset1:3
	ds_write2_b32 v68, v35, v13 offset0:6 offset1:9
	ds_write2_b32 v68, v21, v17 offset0:12 offset1:15
	s_and_saveexec_b64 s[2:3], s[0:1]
	s_cbranch_execz .LBB0_29
; %bb.28:
	v_lshlrev_b32_e32 v12, 2, v66
	v_add3_u32 v12, 0, v67, v12
	ds_write2_b32 v12, v25, v40 offset1:3
	ds_write2_b32 v12, v39, v38 offset0:6 offset1:9
	ds_write2_b32 v12, v37, v36 offset0:12 offset1:15
.LBB0_29:
	s_or_b64 exec, exec, s[2:3]
	v_add_u32_e32 v12, 0x400, v54
	s_waitcnt lgkmcnt(0)
	s_barrier
	ds_read2_b32 v[20:21], v12 offset0:32 offset1:140
	v_add_u32_e32 v12, 0x800, v54
	ds_read2_b32 v[18:19], v12 offset0:64 offset1:172
	v_add_u32_e32 v12, 0xc00, v54
	;; [unrolled: 2-line block ×4, first 2 shown]
	ds_read2_b32 v[12:13], v12 offset0:32 offset1:140
	ds_read_b32 v29, v54
	ds_read_b32 v27, v22
	s_and_saveexec_b64 s[2:3], s[0:1]
	s_cbranch_execz .LBB0_31
; %bb.30:
	ds_read_b32 v40, v54 offset:2016
	ds_read_b32 v39, v54 offset:3168
	;; [unrolled: 1-line block ×4, first 2 shown]
	ds_read_b32 v25, v23
	ds_read_b32 v36, v54 offset:6624
.LBB0_31:
	s_or_b64 exec, exec, s[2:3]
	v_mov_b32_e32 v47, 57
	v_mul_lo_u16_sdwa v35, v49, v47 dst_sel:DWORD dst_unused:UNUSED_PAD src0_sel:BYTE_0 src1_sel:DWORD
	v_lshrrev_b16_e32 v59, 10, v35
	v_mul_lo_u16_e32 v35, 18, v59
	v_sub_u16_e32 v60, v49, v35
	v_mov_b32_e32 v61, 5
	v_mul_u32_u24_sdwa v35, v60, v61 dst_sel:DWORD dst_unused:UNUSED_PAD src0_sel:BYTE_0 src1_sel:DWORD
	v_lshlrev_b32_e32 v35, 3, v35
	global_load_dwordx2 v[45:46], v35, s[8:9] offset:152
	global_load_dwordx4 v[41:44], v35, s[8:9] offset:136
	global_load_dwordx4 v[55:58], v35, s[8:9] offset:120
	s_mov_b32 s2, 0xe38f
	s_waitcnt vmcnt(0) lgkmcnt(6)
	v_mul_f32_e32 v35, v20, v56
	v_fma_f32 v35, v10, v55, -v35
	v_mul_f32_e32 v10, v10, v56
	v_fmac_f32_e32 v10, v20, v55
	s_waitcnt lgkmcnt(5)
	v_mul_f32_e32 v20, v18, v58
	v_fma_f32 v20, v8, v57, -v20
	v_mul_f32_e32 v8, v8, v58
	v_fmac_f32_e32 v8, v18, v57
	s_waitcnt lgkmcnt(4)
	;; [unrolled: 5-line block ×4, first 2 shown]
	v_mul_f32_e32 v14, v12, v46
	v_fma_f32 v63, v2, v45, -v14
	v_mul_f32_e32 v2, v2, v46
	v_fmac_f32_e32 v2, v12, v45
	v_mul_lo_u16_sdwa v12, v53, v47 dst_sel:DWORD dst_unused:UNUSED_PAD src0_sel:BYTE_0 src1_sel:DWORD
	v_lshrrev_b16_e32 v64, 10, v12
	v_mul_lo_u16_e32 v12, 18, v64
	v_sub_u16_e32 v53, v53, v12
	v_mul_u32_u24_sdwa v12, v53, v61 dst_sel:DWORD dst_unused:UNUSED_PAD src0_sel:BYTE_0 src1_sel:DWORD
	v_lshlrev_b32_e32 v12, 3, v12
	global_load_dwordx2 v[45:46], v12, s[8:9] offset:152
	global_load_dwordx4 v[41:44], v12, s[8:9] offset:136
	global_load_dwordx4 v[55:58], v12, s[8:9] offset:120
	s_waitcnt vmcnt(1)
	v_mul_f32_e32 v18, v17, v42
	v_fma_f32 v61, v7, v41, -v18
	v_mul_f32_e32 v7, v7, v42
	v_fmac_f32_e32 v7, v17, v41
	v_mul_f32_e32 v17, v15, v44
	v_fma_f32 v17, v5, v43, -v17
	v_mul_f32_e32 v5, v5, v44
	v_fmac_f32_e32 v5, v15, v43
	;; [unrolled: 4-line block ×3, first 2 shown]
	v_mul_u32_u24_sdwa v13, v52, s2 dst_sel:DWORD dst_unused:UNUSED_PAD src0_sel:WORD_0 src1_sel:DWORD
	v_lshrrev_b32_e32 v13, 20, v13
	v_mul_lo_u16_e32 v15, 18, v13
	v_sub_u16_e32 v52, v52, v15
	s_waitcnt vmcnt(0)
	v_mul_f32_e32 v12, v21, v56
	v_mul_f32_e32 v14, v19, v58
	v_mul_u32_u24_e32 v15, 5, v52
	v_fma_f32 v12, v11, v55, -v12
	v_mul_f32_e32 v11, v11, v56
	v_fma_f32 v14, v9, v57, -v14
	v_mul_f32_e32 v9, v9, v58
	v_lshlrev_b32_e32 v15, 3, v15
	v_fmac_f32_e32 v11, v21, v55
	v_fmac_f32_e32 v9, v19, v57
	global_load_dwordx2 v[46:47], v15, s[8:9] offset:152
	global_load_dwordx4 v[42:45], v15, s[8:9] offset:136
	global_load_dwordx4 v[55:58], v15, s[8:9] offset:120
	s_waitcnt vmcnt(0) lgkmcnt(0)
	s_barrier
	v_mul_f32_e32 v21, v38, v43
	v_mul_f32_e32 v18, v39, v58
	;; [unrolled: 1-line block ×3, first 2 shown]
	v_fma_f32 v18, v33, v57, -v18
	v_mul_f32_e32 v19, v33, v58
	v_fma_f32 v33, v32, v42, -v21
	v_mul_f32_e32 v21, v32, v43
	v_mul_f32_e32 v32, v37, v45
	v_fma_f32 v41, v34, v55, -v15
	v_mul_f32_e32 v15, v34, v56
	v_fma_f32 v32, v31, v44, -v32
	v_mul_f32_e32 v31, v31, v45
	v_mul_f32_e32 v34, v36, v47
	v_fmac_f32_e32 v31, v37, v44
	v_fma_f32 v34, v30, v46, -v34
	v_mul_f32_e32 v30, v30, v47
	v_add_f32_e32 v37, v20, v16
	v_fmac_f32_e32 v30, v36, v46
	v_add_f32_e32 v36, v28, v20
	v_fmac_f32_e32 v28, -0.5, v37
	v_fmac_f32_e32 v19, v39, v57
	v_fmac_f32_e32 v21, v38, v42
	v_sub_f32_e32 v37, v8, v4
	v_mov_b32_e32 v38, v28
	v_add_f32_e32 v39, v62, v63
	v_fmac_f32_e32 v38, 0x3f5db3d7, v37
	v_fmac_f32_e32 v28, 0xbf5db3d7, v37
	v_add_f32_e32 v37, v35, v62
	v_fmac_f32_e32 v35, -0.5, v39
	v_fmac_f32_e32 v15, v40, v55
	v_sub_f32_e32 v40, v6, v2
	v_mov_b32_e32 v39, v35
	v_fmac_f32_e32 v39, 0x3f5db3d7, v40
	v_fmac_f32_e32 v35, 0xbf5db3d7, v40
	v_add_f32_e32 v40, v6, v2
	v_fma_f32 v40, -0.5, v40, v10
	v_sub_f32_e32 v43, v62, v63
	v_mov_b32_e32 v42, v40
	v_add_f32_e32 v36, v36, v16
	v_add_f32_e32 v37, v37, v63
	v_fmac_f32_e32 v42, 0xbf5db3d7, v43
	v_fmac_f32_e32 v40, 0x3f5db3d7, v43
	v_mul_f32_e32 v44, -0.5, v35
	v_add_f32_e32 v47, v36, v37
	v_mul_f32_e32 v43, 0x3f5db3d7, v42
	v_fmac_f32_e32 v44, 0x3f5db3d7, v40
	v_sub_f32_e32 v57, v36, v37
	v_add_f32_e32 v36, v14, v17
	v_fmac_f32_e32 v43, 0.5, v39
	v_add_f32_e32 v56, v28, v44
	v_sub_f32_e32 v58, v28, v44
	v_add_f32_e32 v28, v26, v14
	v_fmac_f32_e32 v26, -0.5, v36
	v_add_f32_e32 v55, v38, v43
	v_sub_f32_e32 v38, v38, v43
	v_sub_f32_e32 v36, v9, v5
	v_mov_b32_e32 v37, v26
	v_add_f32_e32 v43, v61, v65
	v_fmac_f32_e32 v37, 0x3f5db3d7, v36
	v_fmac_f32_e32 v26, 0xbf5db3d7, v36
	v_add_f32_e32 v36, v12, v61
	v_fmac_f32_e32 v12, -0.5, v43
	v_sub_f32_e32 v44, v7, v3
	v_mov_b32_e32 v43, v12
	v_fmac_f32_e32 v43, 0x3f5db3d7, v44
	v_fmac_f32_e32 v12, 0xbf5db3d7, v44
	v_add_f32_e32 v44, v7, v3
	v_fma_f32 v44, -0.5, v44, v11
	v_sub_f32_e32 v45, v61, v65
	v_mov_b32_e32 v46, v44
	v_fmac_f32_e32 v44, 0x3f5db3d7, v45
	v_mul_f32_e32 v63, -0.5, v12
	v_fmac_f32_e32 v63, 0x3f5db3d7, v44
	v_add_f32_e32 v36, v36, v65
	v_add_f32_e32 v65, v26, v63
	v_sub_f32_e32 v63, v26, v63
	v_add_f32_e32 v26, v33, v34
	v_add_f32_e32 v28, v28, v17
	v_fma_f32 v26, -0.5, v26, v41
	v_fmac_f32_e32 v46, 0xbf5db3d7, v45
	v_add_f32_e32 v61, v28, v36
	v_sub_f32_e32 v66, v28, v36
	v_sub_f32_e32 v36, v21, v30
	v_mov_b32_e32 v28, v26
	v_mul_f32_e32 v45, 0x3f5db3d7, v46
	v_fmac_f32_e32 v28, 0x3f5db3d7, v36
	v_fmac_f32_e32 v26, 0xbf5db3d7, v36
	v_add_f32_e32 v36, v21, v30
	v_fmac_f32_e32 v45, 0.5, v43
	v_fma_f32 v36, -0.5, v36, v15
	v_add_f32_e32 v62, v37, v45
	v_sub_f32_e32 v67, v37, v45
	v_sub_f32_e32 v45, v33, v34
	v_mov_b32_e32 v37, v36
	v_fmac_f32_e32 v37, 0xbf5db3d7, v45
	v_fmac_f32_e32 v36, 0x3f5db3d7, v45
	v_mul_u32_u24_e32 v45, 0x1b0, v59
	v_mov_b32_e32 v59, 2
	v_lshlrev_b32_sdwa v60, v59, v60 dst_sel:DWORD dst_unused:UNUSED_PAD src0_sel:DWORD src1_sel:BYTE_0
	v_add3_u32 v45, 0, v45, v60
	ds_write2_b32 v45, v47, v55 offset1:18
	ds_write2_b32 v45, v56, v57 offset0:36 offset1:54
	ds_write2_b32 v45, v38, v58 offset0:72 offset1:90
	v_mul_u32_u24_e32 v38, 0x1b0, v64
	v_lshlrev_b32_sdwa v47, v59, v53 dst_sel:DWORD dst_unused:UNUSED_PAD src0_sel:DWORD src1_sel:BYTE_0
	v_add3_u32 v47, 0, v38, v47
	v_lshlrev_b32_e32 v38, 2, v52
	ds_write2_b32 v47, v61, v62 offset1:18
	ds_write2_b32 v47, v65, v66 offset0:36 offset1:54
	ds_write2_b32 v47, v67, v63 offset0:72 offset1:90
	s_and_saveexec_b64 s[2:3], s[0:1]
	s_cbranch_execz .LBB0_33
; %bb.32:
	v_add_f32_e32 v52, v18, v32
	v_fma_f32 v52, -0.5, v52, v24
	v_add_f32_e32 v24, v24, v18
	v_add_f32_e32 v33, v41, v33
	v_sub_f32_e32 v53, v19, v31
	v_mov_b32_e32 v55, v52
	v_add_f32_e32 v24, v24, v32
	v_add_f32_e32 v33, v33, v34
	v_fmac_f32_e32 v55, 0xbf5db3d7, v53
	v_fmac_f32_e32 v52, 0x3f5db3d7, v53
	v_mul_f32_e32 v53, 0x3f5db3d7, v37
	v_sub_f32_e32 v34, v24, v33
	v_add_f32_e32 v24, v24, v33
	v_mul_lo_u16_e32 v33, 0x6c, v13
	v_mul_f32_e32 v56, -0.5, v26
	v_fmac_f32_e32 v53, 0.5, v28
	v_lshlrev_b32_e32 v33, 2, v33
	v_fmac_f32_e32 v56, 0x3f5db3d7, v36
	v_sub_f32_e32 v58, v52, v53
	v_add_f32_e32 v52, v52, v53
	v_add3_u32 v33, 0, v38, v33
	v_sub_f32_e32 v57, v55, v56
	v_add_f32_e32 v41, v55, v56
	ds_write2_b32 v33, v24, v52 offset1:18
	ds_write2_b32 v33, v41, v34 offset0:36 offset1:54
	ds_write2_b32 v33, v58, v57 offset0:72 offset1:90
.LBB0_33:
	s_or_b64 exec, exec, s[2:3]
	v_add_f32_e32 v24, v29, v8
	v_add_f32_e32 v24, v24, v4
	;; [unrolled: 1-line block ×3, first 2 shown]
	v_fmac_f32_e32 v29, -0.5, v4
	v_sub_f32_e32 v4, v20, v16
	v_mov_b32_e32 v8, v29
	v_fmac_f32_e32 v8, 0xbf5db3d7, v4
	v_fmac_f32_e32 v29, 0x3f5db3d7, v4
	v_add_f32_e32 v4, v10, v6
	v_add_f32_e32 v2, v4, v2
	v_mul_f32_e32 v4, 0xbf5db3d7, v39
	v_fmac_f32_e32 v4, 0.5, v42
	v_add_f32_e32 v39, v8, v4
	v_sub_f32_e32 v41, v8, v4
	v_add_f32_e32 v4, v9, v5
	v_add_f32_e32 v34, v24, v2
	v_mul_f32_e32 v6, -0.5, v40
	v_sub_f32_e32 v40, v24, v2
	v_add_f32_e32 v2, v27, v9
	v_fmac_f32_e32 v27, -0.5, v4
	v_add_f32_e32 v2, v2, v5
	v_sub_f32_e32 v4, v14, v17
	v_mov_b32_e32 v5, v27
	v_fmac_f32_e32 v6, 0xbf5db3d7, v35
	v_fmac_f32_e32 v5, 0xbf5db3d7, v4
	;; [unrolled: 1-line block ×3, first 2 shown]
	v_add_f32_e32 v4, v11, v7
	v_add_f32_e32 v35, v29, v6
	v_sub_f32_e32 v42, v29, v6
	v_add_f32_e32 v3, v4, v3
	v_mul_f32_e32 v4, 0xbf5db3d7, v43
	v_mul_f32_e32 v6, -0.5, v44
	v_add_f32_e32 v52, v2, v3
	v_fmac_f32_e32 v4, 0.5, v46
	v_fmac_f32_e32 v6, 0xbf5db3d7, v12
	v_sub_f32_e32 v46, v2, v3
	v_add_u32_e32 v2, 0x800, v54
	v_add_f32_e32 v44, v27, v6
	v_sub_f32_e32 v55, v27, v6
	s_waitcnt lgkmcnt(0)
	s_barrier
	ds_read_b32 v24, v23
	v_lshl_add_u32 v27, v50, 2, 0
	v_lshl_add_u32 v29, v51, 2, 0
	ds_read_b32 v12, v54
	ds_read_b32 v20, v27
	;; [unrolled: 1-line block ×3, first 2 shown]
	v_lshl_add_u32 v33, v49, 2, 0
	ds_read_b32 v16, v22
	ds_read_b32 v17, v33 offset:2160
	ds_read2_b32 v[8:9], v2 offset0:136 offset1:244
	v_add_u32_e32 v2, 0xc00, v54
	v_add_f32_e32 v43, v5, v4
	v_sub_f32_e32 v53, v5, v4
	ds_read2_b32 v[4:5], v2 offset0:96 offset1:204
	v_add_u32_e32 v2, 0x1000, v54
	ds_read2_b32 v[6:7], v2 offset0:56 offset1:164
	v_add_u32_e32 v2, 0x1400, v54
	v_add_u32_e32 v10, 0x1600, v54
	ds_read2_b32 v[2:3], v2 offset0:16 offset1:124
	ds_read2_b32 v[10:11], v10 offset0:104 offset1:212
	s_waitcnt lgkmcnt(0)
	s_barrier
	ds_write2_b32 v45, v34, v39 offset1:18
	ds_write2_b32 v45, v35, v40 offset0:36 offset1:54
	ds_write2_b32 v45, v41, v42 offset0:72 offset1:90
	ds_write2_b32 v47, v52, v43 offset1:18
	ds_write2_b32 v47, v44, v46 offset0:36 offset1:54
	ds_write2_b32 v47, v53, v55 offset0:72 offset1:90
	s_and_saveexec_b64 s[2:3], s[0:1]
	s_cbranch_execz .LBB0_35
; %bb.34:
	v_add_f32_e32 v34, v25, v19
	v_add_f32_e32 v19, v19, v31
	v_fmac_f32_e32 v25, -0.5, v19
	v_sub_f32_e32 v18, v18, v32
	v_mov_b32_e32 v19, v25
	v_add_f32_e32 v15, v15, v21
	v_mul_f32_e32 v21, 0xbf5db3d7, v28
	v_mul_lo_u16_e32 v13, 0x6c, v13
	v_add_f32_e32 v34, v34, v31
	v_fmac_f32_e32 v19, 0xbf5db3d7, v18
	v_add_f32_e32 v15, v15, v30
	v_fmac_f32_e32 v21, 0.5, v37
	v_mul_f32_e32 v30, -0.5, v36
	v_lshlrev_b32_e32 v13, 2, v13
	v_fmac_f32_e32 v25, 0x3f5db3d7, v18
	v_add_f32_e32 v18, v34, v15
	v_add_f32_e32 v28, v19, v21
	v_fmac_f32_e32 v30, 0xbf5db3d7, v26
	v_add3_u32 v13, 0, v38, v13
	v_add_f32_e32 v26, v25, v30
	v_sub_f32_e32 v15, v34, v15
	v_sub_f32_e32 v19, v19, v21
	;; [unrolled: 1-line block ×3, first 2 shown]
	ds_write2_b32 v13, v18, v28 offset1:18
	ds_write2_b32 v13, v26, v15 offset0:36 offset1:54
	ds_write2_b32 v13, v19, v21 offset0:72 offset1:90
.LBB0_35:
	s_or_b64 exec, exec, s[2:3]
	s_waitcnt lgkmcnt(0)
	s_barrier
	s_and_saveexec_b64 s[0:1], vcc
	s_cbranch_execz .LBB0_37
; %bb.36:
	v_mul_u32_u24_e32 v13, 15, v49
	v_lshlrev_b32_e32 v13, 3, v13
	global_load_dwordx4 v[34:37], v13, s[8:9] offset:840
	global_load_dwordx4 v[38:41], v13, s[8:9] offset:904
	global_load_dwordx4 v[42:45], v13, s[8:9] offset:872
	global_load_dwordx4 v[49:52], v13, s[8:9] offset:936
	global_load_dwordx4 v[55:58], v13, s[8:9] offset:856
	global_load_dwordx4 v[59:62], v13, s[8:9] offset:920
	global_load_dwordx4 v[63:66], v13, s[8:9] offset:888
	global_load_dwordx2 v[18:19], v13, s[8:9] offset:952
	ds_read_b32 v13, v23
	ds_read_b32 v46, v54
	v_add_u32_e32 v28, 0x1600, v54
	v_add_u32_e32 v30, 0x1400, v54
	;; [unrolled: 1-line block ×5, first 2 shown]
	ds_read_b32 v47, v22
	ds_read_b32 v33, v33 offset:2160
	ds_read_b32 v53, v29
	ds_read_b32 v54, v27
	ds_read2_b32 v[21:22], v15 offset0:56 offset1:164
	ds_read2_b32 v[25:26], v23 offset0:136 offset1:244
	;; [unrolled: 1-line block ×5, first 2 shown]
	s_waitcnt vmcnt(7) lgkmcnt(10)
	v_mul_f32_e32 v15, v13, v37
	v_mul_f32_e32 v37, v24, v37
	v_fma_f32 v15, v24, v36, -v15
	v_fmac_f32_e32 v37, v36, v13
	s_waitcnt vmcnt(3) lgkmcnt(5)
	v_mul_f32_e32 v72, v54, v56
	s_waitcnt vmcnt(2) lgkmcnt(4)
	v_mul_f32_e32 v73, v22, v60
	v_fma_f32 v36, v7, v59, -v73
	s_waitcnt vmcnt(0)
	v_mul_f32_e32 v75, v11, v19
	s_waitcnt lgkmcnt(2)
	v_fmac_f32_e32 v75, v28, v18
	v_mul_f32_e32 v19, v28, v19
	v_fma_f32 v28, v20, v55, -v72
	v_mul_f32_e32 v20, v20, v56
	v_mul_f32_e32 v7, v7, v60
	v_fmac_f32_e32 v20, v55, v54
	v_fmac_f32_e32 v7, v59, v22
	v_sub_f32_e32 v22, v20, v7
	v_mul_f32_e32 v7, v33, v43
	v_mul_f32_e32 v23, v21, v41
	;; [unrolled: 1-line block ×8, first 2 shown]
	s_waitcnt lgkmcnt(1)
	v_mul_f32_e32 v70, v29, v62
	v_mul_f32_e32 v74, v9, v64
	;; [unrolled: 1-line block ×3, first 2 shown]
	v_fma_f32 v7, v17, v42, -v7
	v_mul_f32_e32 v17, v30, v50
	v_mul_f32_e32 v71, v4, v66
	v_fmac_f32_e32 v67, v25, v44
	v_fmac_f32_e32 v74, v26, v63
	v_mul_f32_e32 v25, v26, v64
	v_mul_f32_e32 v26, v47, v35
	v_fmac_f32_e32 v68, v27, v51
	s_waitcnt lgkmcnt(0)
	v_mul_f32_e32 v27, v32, v39
	v_mul_f32_e32 v13, v3, v50
	v_fma_f32 v6, v6, v40, -v23
	v_fma_f32 v8, v8, v44, -v45
	;; [unrolled: 1-line block ×3, first 2 shown]
	v_fmac_f32_e32 v41, v40, v21
	v_fma_f32 v21, v14, v57, -v69
	v_fma_f32 v23, v2, v61, -v70
	;; [unrolled: 1-line block ×3, first 2 shown]
	v_mul_f32_e32 v14, v14, v58
	v_mul_f32_e32 v2, v2, v62
	v_fmac_f32_e32 v71, v31, v65
	v_fma_f32 v26, v16, v34, -v26
	v_fma_f32 v27, v5, v38, -v27
	;; [unrolled: 1-line block ×3, first 2 shown]
	v_sub_f32_e32 v18, v15, v6
	v_sub_f32_e32 v10, v8, v10
	;; [unrolled: 1-line block ×3, first 2 shown]
	v_mul_f32_e32 v16, v16, v35
	v_mul_f32_e32 v3, v5, v39
	v_fmac_f32_e32 v14, v57, v53
	v_fmac_f32_e32 v2, v61, v29
	v_fma_f32 v9, v9, v63, -v25
	v_sub_f32_e32 v23, v21, v23
	v_sub_f32_e32 v25, v46, v71
	;; [unrolled: 1-line block ×3, first 2 shown]
	v_fmac_f32_e32 v16, v34, v47
	v_fmac_f32_e32 v3, v38, v32
	v_sub_f32_e32 v29, v14, v2
	v_fma_f32 v38, v15, 2.0, -v18
	v_fma_f32 v8, v8, 2.0, -v10
	v_fmac_f32_e32 v24, v33, v42
	v_fmac_f32_e32 v13, v30, v49
	v_sub_f32_e32 v19, v37, v41
	v_sub_f32_e32 v40, v74, v75
	v_add_f32_e32 v45, v23, v25
	v_sub_f32_e32 v30, v16, v3
	v_mul_f32_e32 v31, v31, v66
	v_sub_f32_e32 v39, v38, v8
	v_fma_f32 v8, v14, 2.0, -v29
	v_fma_f32 v14, v26, 2.0, -v27
	;; [unrolled: 1-line block ×3, first 2 shown]
	v_sub_f32_e32 v6, v67, v68
	v_sub_f32_e32 v36, v28, v36
	v_sub_f32_e32 v13, v24, v13
	v_add_f32_e32 v44, v19, v10
	v_mov_b32_e32 v54, v45
	v_sub_f32_e32 v11, v9, v11
	v_add_f32_e32 v32, v30, v17
	v_fma_f32 v4, v4, v65, -v31
	v_sub_f32_e32 v26, v14, v7
	v_fma_f32 v20, v20, 2.0, -v22
	v_fma_f32 v7, v74, 2.0, -v40
	v_sub_f32_e32 v41, v18, v6
	v_sub_f32_e32 v51, v36, v40
	v_sub_f32_e32 v52, v27, v13
	v_fmac_f32_e32 v54, 0x3f3504f3, v44
	v_add_f32_e32 v56, v22, v11
	v_mov_b32_e32 v33, v32
	v_sub_f32_e32 v31, v12, v4
	v_fma_f32 v15, v46, 2.0, -v25
	v_sub_f32_e32 v40, v20, v7
	v_fma_f32 v17, v28, 2.0, -v36
	v_fma_f32 v7, v9, 2.0, -v11
	v_mov_b32_e32 v55, v52
	v_fmac_f32_e32 v54, 0x3f3504f3, v41
	v_fmac_f32_e32 v33, 0x3f3504f3, v56
	v_sub_f32_e32 v34, v31, v29
	v_sub_f32_e32 v29, v15, v8
	;; [unrolled: 1-line block ×3, first 2 shown]
	v_fma_f32 v47, v12, 2.0, -v31
	v_fma_f32 v8, v21, 2.0, -v23
	v_fmac_f32_e32 v55, 0x3f3504f3, v51
	v_fmac_f32_e32 v33, 0x3f3504f3, v51
	v_mov_b32_e32 v35, v34
	v_sub_f32_e32 v49, v47, v8
	v_fma_f32 v10, v18, 2.0, -v41
	v_fma_f32 v57, v14, 2.0, -v26
	;; [unrolled: 1-line block ×4, first 2 shown]
	v_fmac_f32_e32 v55, 0xbf3504f3, v56
	v_fmac_f32_e32 v35, 0x3f3504f3, v41
	v_fma_f32 v7, v24, 2.0, -v13
	v_fma_f32 v21, v37, 2.0, -v19
	;; [unrolled: 1-line block ×5, first 2 shown]
	v_sub_f32_e32 v58, v57, v14
	v_fma_f32 v47, v47, 2.0, -v49
	v_fma_f32 v14, v38, 2.0, -v39
	;; [unrolled: 1-line block ×3, first 2 shown]
	v_mov_b32_e32 v19, v18
	v_fmac_f32_e32 v35, 0xbf3504f3, v44
	v_sub_f32_e32 v23, v21, v6
	v_sub_f32_e32 v38, v47, v14
	v_fma_f32 v14, v20, 2.0, -v40
	v_fma_f32 v20, v52, 2.0, -v55
	v_fmac_f32_e32 v19, 0xbec3ef15, v22
	v_sub_f32_e32 v37, v49, v23
	v_fma_f32 v53, v15, 2.0, -v29
	v_fma_f32 v15, v21, 2.0, -v23
	v_fmac_f32_e32 v19, 0x3f6c835e, v20
	v_fma_f32 v23, v34, 2.0, -v35
	v_fma_f32 v16, v16, 2.0, -v30
	;; [unrolled: 1-line block ×3, first 2 shown]
	v_mov_b32_e32 v18, v23
	v_add_f32_e32 v42, v39, v29
	v_sub_f32_e32 v24, v16, v7
	v_fmac_f32_e32 v18, 0xbec3ef15, v20
	v_add_f32_e32 v46, v28, v24
	v_fmac_f32_e32 v18, 0xbf6c835e, v22
	v_fma_f32 v22, v29, 2.0, -v42
	v_sub_f32_e32 v43, v26, v40
	v_fma_f32 v39, v16, 2.0, -v24
	v_fma_f32 v20, v23, 2.0, -v18
	;; [unrolled: 1-line block ×3, first 2 shown]
	v_mov_b32_e32 v23, v22
	v_fma_f32 v41, v25, 2.0, -v45
	v_fma_f32 v26, v26, 2.0, -v43
	v_fmac_f32_e32 v23, 0xbf3504f3, v24
	v_mov_b32_e32 v44, v41
	v_fma_f32 v27, v27, 2.0, -v52
	v_fma_f32 v30, v30, 2.0, -v32
	v_fmac_f32_e32 v23, 0x3f3504f3, v26
	v_fma_f32 v28, v49, 2.0, -v37
	v_fmac_f32_e32 v44, 0xbf3504f3, v12
	v_fma_f32 v11, v36, 2.0, -v51
	v_mov_b32_e32 v36, v27
	v_mov_b32_e32 v50, v30
	v_fma_f32 v25, v22, 2.0, -v23
	v_mov_b32_e32 v22, v28
	v_fmac_f32_e32 v44, 0x3f3504f3, v10
	v_fmac_f32_e32 v36, 0xbf3504f3, v11
	;; [unrolled: 1-line block ×3, first 2 shown]
	v_fma_f32 v31, v31, 2.0, -v34
	v_fmac_f32_e32 v22, 0xbf3504f3, v26
	v_fmac_f32_e32 v36, 0xbf3504f3, v13
	;; [unrolled: 1-line block ×3, first 2 shown]
	v_mov_b32_e32 v51, v31
	v_fmac_f32_e32 v22, 0xbf3504f3, v24
	v_fma_f32 v26, v41, 2.0, -v44
	v_fmac_f32_e32 v51, 0xbf3504f3, v10
	v_fma_f32 v24, v28, 2.0, -v22
	v_fma_f32 v28, v27, 2.0, -v36
	;; [unrolled: 1-line block ×3, first 2 shown]
	v_mov_b32_e32 v27, v26
	v_fmac_f32_e32 v51, 0xbf3504f3, v12
	v_fmac_f32_e32 v27, 0xbf6c835e, v30
	;; [unrolled: 1-line block ×3, first 2 shown]
	v_fma_f32 v31, v31, 2.0, -v51
	v_fma_f32 v29, v26, 2.0, -v27
	v_mov_b32_e32 v26, v31
	v_fmac_f32_e32 v26, 0xbf6c835e, v28
	v_fmac_f32_e32 v26, 0xbec3ef15, v30
	v_mov_b32_e32 v2, v35
	v_fma_f32 v28, v31, 2.0, -v26
	v_mad_u64_u32 v[30:31], s[0:1], s12, v48, 0
	v_mov_b32_e32 v3, v54
	v_fmac_f32_e32 v2, 0x3f6c835e, v55
	v_mov_b32_e32 v6, v37
	v_sub_f32_e32 v56, v53, v15
	v_sub_f32_e32 v40, v39, v14
	v_fmac_f32_e32 v3, 0x3f6c835e, v33
	v_fmac_f32_e32 v2, 0xbec3ef15, v33
	;; [unrolled: 1-line block ×3, first 2 shown]
	v_mov_b32_e32 v11, v44
	v_fma_f32 v32, v53, 2.0, -v56
	v_fma_f32 v33, v39, 2.0, -v40
	v_fmac_f32_e32 v6, 0xbf3504f3, v46
	v_fmac_f32_e32 v11, 0x3ec3ef15, v50
	v_mov_b32_e32 v10, v51
	v_sub_f32_e32 v33, v32, v33
	v_add_u32_e32 v39, 0x6c, v48
	v_fma_f32 v4, v35, 2.0, -v2
	v_fma_f32 v8, v37, 2.0, -v6
	v_fmac_f32_e32 v11, 0x3f6c835e, v36
	v_fmac_f32_e32 v10, 0x3ec3ef15, v36
	v_fma_f32 v35, v32, 2.0, -v33
	v_mad_u64_u32 v[31:32], s[0:1], s13, v48, v[31:32]
	v_mad_u64_u32 v[36:37], s[0:1], s12, v39, 0
	v_sub_f32_e32 v14, v38, v40
	v_fma_f32 v16, v38, 2.0, -v14
	v_fma_f32 v34, v47, 2.0, -v38
	v_mov_b32_e32 v38, s15
	v_add_co_u32_e32 v40, vcc, s14, v0
	v_addc_co_u32_e32 v38, vcc, v38, v1, vcc
	v_lshlrev_b64 v[0:1], 3, v[30:31]
	v_mov_b32_e32 v30, v37
	v_fma_f32 v32, v57, 2.0, -v58
	v_mad_u64_u32 v[30:31], s[0:1], s13, v39, v[30:31]
	v_sub_f32_e32 v32, v34, v32
	v_add_co_u32_e32 v0, vcc, v40, v0
	v_fma_f32 v34, v34, 2.0, -v32
	v_addc_co_u32_e32 v1, vcc, v38, v1, vcc
	global_store_dwordx2 v[0:1], v[34:35], off
	v_add_u32_e32 v34, 0xd8, v48
	v_mov_b32_e32 v37, v30
	v_mad_u64_u32 v[30:31], s[0:1], s12, v34, 0
	v_lshlrev_b64 v[0:1], 3, v[36:37]
	v_add_u32_e32 v37, 0x144, v48
	v_mad_u64_u32 v[34:35], s[0:1], s13, v34, v[31:32]
	v_mad_u64_u32 v[35:36], s[0:1], s12, v37, 0
	v_add_co_u32_e32 v0, vcc, v40, v0
	v_addc_co_u32_e32 v1, vcc, v38, v1, vcc
	global_store_dwordx2 v[0:1], v[28:29], off
	v_mov_b32_e32 v28, v36
	v_mov_b32_e32 v31, v34
	v_mad_u64_u32 v[28:29], s[0:1], s13, v37, v[28:29]
	v_lshlrev_b64 v[0:1], 3, v[30:31]
	v_add_u32_e32 v31, 0x21c, v48
	v_add_co_u32_e32 v0, vcc, v40, v0
	v_addc_co_u32_e32 v1, vcc, v38, v1, vcc
	v_mov_b32_e32 v36, v28
	v_add_u32_e32 v28, 0x1b0, v48
	global_store_dwordx2 v[0:1], v[24:25], off
	v_mad_u64_u32 v[24:25], s[0:1], s12, v28, 0
	v_lshlrev_b64 v[0:1], 3, v[35:36]
	v_add_f32_e32 v15, v56, v58
	v_mad_u64_u32 v[28:29], s[0:1], s13, v28, v[25:26]
	v_mad_u64_u32 v[29:30], s[0:1], s12, v31, 0
	v_add_co_u32_e32 v0, vcc, v40, v0
	v_addc_co_u32_e32 v1, vcc, v38, v1, vcc
	global_store_dwordx2 v[0:1], v[20:21], off
	v_mov_b32_e32 v20, v30
	v_mov_b32_e32 v25, v28
	v_mad_u64_u32 v[20:21], s[0:1], s13, v31, v[20:21]
	v_lshlrev_b64 v[0:1], 3, v[24:25]
	v_fma_f32 v17, v56, 2.0, -v15
	v_add_co_u32_e32 v0, vcc, v40, v0
	v_addc_co_u32_e32 v1, vcc, v38, v1, vcc
	v_mov_b32_e32 v30, v20
	v_add_u32_e32 v20, 0x288, v48
	global_store_dwordx2 v[0:1], v[16:17], off
	v_mad_u64_u32 v[16:17], s[0:1], s12, v20, 0
	v_lshlrev_b64 v[0:1], 3, v[29:30]
	v_fmac_f32_e32 v10, 0xbf6c835e, v50
	v_mad_u64_u32 v[20:21], s[0:1], s13, v20, v[17:18]
	v_add_u32_e32 v21, 0x2f4, v48
	v_mad_u64_u32 v[24:25], s[0:1], s12, v21, 0
	v_add_co_u32_e32 v0, vcc, v40, v0
	v_fma_f32 v13, v44, 2.0, -v11
	v_fma_f32 v12, v51, 2.0, -v10
	v_addc_co_u32_e32 v1, vcc, v38, v1, vcc
	global_store_dwordx2 v[0:1], v[12:13], off
	v_mov_b32_e32 v12, v25
	v_mov_b32_e32 v17, v20
	v_mad_u64_u32 v[12:13], s[0:1], s13, v21, v[12:13]
	v_mov_b32_e32 v7, v42
	v_lshlrev_b64 v[0:1], 3, v[16:17]
	v_fmac_f32_e32 v7, 0x3f3504f3, v46
	v_fmac_f32_e32 v7, 0x3f3504f3, v43
	v_add_co_u32_e32 v0, vcc, v40, v0
	v_fma_f32 v9, v42, 2.0, -v7
	v_addc_co_u32_e32 v1, vcc, v38, v1, vcc
	v_mov_b32_e32 v25, v12
	v_add_u32_e32 v12, 0x360, v48
	global_store_dwordx2 v[0:1], v[8:9], off
	v_mad_u64_u32 v[8:9], s[0:1], s12, v12, 0
	v_lshlrev_b64 v[0:1], 3, v[24:25]
	v_fmac_f32_e32 v3, 0x3ec3ef15, v55
	v_mad_u64_u32 v[12:13], s[0:1], s13, v12, v[9:10]
	v_add_u32_e32 v13, 0x3cc, v48
	v_mad_u64_u32 v[16:17], s[0:1], s12, v13, 0
	v_add_co_u32_e32 v0, vcc, v40, v0
	v_fma_f32 v5, v54, 2.0, -v3
	v_addc_co_u32_e32 v1, vcc, v38, v1, vcc
	global_store_dwordx2 v[0:1], v[4:5], off
	v_mov_b32_e32 v4, v17
	v_mad_u64_u32 v[4:5], s[0:1], s13, v13, v[4:5]
	v_mov_b32_e32 v9, v12
	v_lshlrev_b64 v[0:1], 3, v[8:9]
	v_add_u32_e32 v8, 0x438, v48
	v_mov_b32_e32 v17, v4
	v_mad_u64_u32 v[4:5], s[0:1], s12, v8, 0
	v_add_co_u32_e32 v0, vcc, v40, v0
	v_mad_u64_u32 v[8:9], s[0:1], s13, v8, v[5:6]
	v_addc_co_u32_e32 v1, vcc, v38, v1, vcc
	v_add_u32_e32 v9, 0x4a4, v48
	global_store_dwordx2 v[0:1], v[32:33], off
	v_lshlrev_b64 v[0:1], 3, v[16:17]
	v_mad_u64_u32 v[12:13], s[0:1], s12, v9, 0
	v_add_co_u32_e32 v0, vcc, v40, v0
	v_addc_co_u32_e32 v1, vcc, v38, v1, vcc
	v_mov_b32_e32 v5, v8
	global_store_dwordx2 v[0:1], v[26:27], off
	v_lshlrev_b64 v[0:1], 3, v[4:5]
	v_mov_b32_e32 v4, v13
	v_mad_u64_u32 v[4:5], s[0:1], s13, v9, v[4:5]
	v_add_u32_e32 v8, 0x510, v48
	v_add_co_u32_e32 v0, vcc, v40, v0
	v_mov_b32_e32 v13, v4
	v_mad_u64_u32 v[4:5], s[0:1], s12, v8, 0
	v_addc_co_u32_e32 v1, vcc, v38, v1, vcc
	v_mad_u64_u32 v[8:9], s[0:1], s13, v8, v[5:6]
	v_add_u32_e32 v9, 0x57c, v48
	global_store_dwordx2 v[0:1], v[22:23], off
	v_lshlrev_b64 v[0:1], 3, v[12:13]
	v_mad_u64_u32 v[12:13], s[0:1], s12, v9, 0
	v_add_co_u32_e32 v0, vcc, v40, v0
	v_addc_co_u32_e32 v1, vcc, v38, v1, vcc
	v_mov_b32_e32 v5, v8
	global_store_dwordx2 v[0:1], v[18:19], off
	v_lshlrev_b64 v[0:1], 3, v[4:5]
	v_mov_b32_e32 v4, v13
	v_mad_u64_u32 v[4:5], s[0:1], s13, v9, v[4:5]
	v_add_u32_e32 v8, 0x5e8, v48
	v_add_co_u32_e32 v0, vcc, v40, v0
	v_mov_b32_e32 v13, v4
	v_mad_u64_u32 v[4:5], s[0:1], s12, v8, 0
	v_addc_co_u32_e32 v1, vcc, v38, v1, vcc
	v_mad_u64_u32 v[8:9], s[0:1], s13, v8, v[5:6]
	v_add_u32_e32 v9, 0x654, v48
	global_store_dwordx2 v[0:1], v[14:15], off
	v_lshlrev_b64 v[0:1], 3, v[12:13]
	v_mad_u64_u32 v[12:13], s[0:1], s12, v9, 0
	v_add_co_u32_e32 v0, vcc, v40, v0
	v_addc_co_u32_e32 v1, vcc, v38, v1, vcc
	v_mov_b32_e32 v5, v8
	global_store_dwordx2 v[0:1], v[10:11], off
	v_lshlrev_b64 v[0:1], 3, v[4:5]
	v_mov_b32_e32 v4, v13
	v_mad_u64_u32 v[4:5], s[0:1], s13, v9, v[4:5]
	v_add_co_u32_e32 v0, vcc, v40, v0
	v_addc_co_u32_e32 v1, vcc, v38, v1, vcc
	v_mov_b32_e32 v13, v4
	global_store_dwordx2 v[0:1], v[6:7], off
	v_lshlrev_b64 v[0:1], 3, v[12:13]
	v_add_co_u32_e32 v0, vcc, v40, v0
	v_addc_co_u32_e32 v1, vcc, v38, v1, vcc
	global_store_dwordx2 v[0:1], v[2:3], off
.LBB0_37:
	s_endpgm
	.section	.rodata,"a",@progbits
	.p2align	6, 0x0
	.amdhsa_kernel fft_rtc_fwd_len1728_factors_3_6_6_16_wgs_108_tpt_108_halfLds_sp_ip_CI_sbrr_dirReg
		.amdhsa_group_segment_fixed_size 0
		.amdhsa_private_segment_fixed_size 0
		.amdhsa_kernarg_size 88
		.amdhsa_user_sgpr_count 6
		.amdhsa_user_sgpr_private_segment_buffer 1
		.amdhsa_user_sgpr_dispatch_ptr 0
		.amdhsa_user_sgpr_queue_ptr 0
		.amdhsa_user_sgpr_kernarg_segment_ptr 1
		.amdhsa_user_sgpr_dispatch_id 0
		.amdhsa_user_sgpr_flat_scratch_init 0
		.amdhsa_user_sgpr_private_segment_size 0
		.amdhsa_uses_dynamic_stack 0
		.amdhsa_system_sgpr_private_segment_wavefront_offset 0
		.amdhsa_system_sgpr_workgroup_id_x 1
		.amdhsa_system_sgpr_workgroup_id_y 0
		.amdhsa_system_sgpr_workgroup_id_z 0
		.amdhsa_system_sgpr_workgroup_info 0
		.amdhsa_system_vgpr_workitem_id 0
		.amdhsa_next_free_vgpr 76
		.amdhsa_next_free_sgpr 24
		.amdhsa_reserve_vcc 1
		.amdhsa_reserve_flat_scratch 0
		.amdhsa_float_round_mode_32 0
		.amdhsa_float_round_mode_16_64 0
		.amdhsa_float_denorm_mode_32 3
		.amdhsa_float_denorm_mode_16_64 3
		.amdhsa_dx10_clamp 1
		.amdhsa_ieee_mode 1
		.amdhsa_fp16_overflow 0
		.amdhsa_exception_fp_ieee_invalid_op 0
		.amdhsa_exception_fp_denorm_src 0
		.amdhsa_exception_fp_ieee_div_zero 0
		.amdhsa_exception_fp_ieee_overflow 0
		.amdhsa_exception_fp_ieee_underflow 0
		.amdhsa_exception_fp_ieee_inexact 0
		.amdhsa_exception_int_div_zero 0
	.end_amdhsa_kernel
	.text
.Lfunc_end0:
	.size	fft_rtc_fwd_len1728_factors_3_6_6_16_wgs_108_tpt_108_halfLds_sp_ip_CI_sbrr_dirReg, .Lfunc_end0-fft_rtc_fwd_len1728_factors_3_6_6_16_wgs_108_tpt_108_halfLds_sp_ip_CI_sbrr_dirReg
                                        ; -- End function
	.section	.AMDGPU.csdata,"",@progbits
; Kernel info:
; codeLenInByte = 9652
; NumSgprs: 28
; NumVgprs: 76
; ScratchSize: 0
; MemoryBound: 0
; FloatMode: 240
; IeeeMode: 1
; LDSByteSize: 0 bytes/workgroup (compile time only)
; SGPRBlocks: 3
; VGPRBlocks: 18
; NumSGPRsForWavesPerEU: 28
; NumVGPRsForWavesPerEU: 76
; Occupancy: 3
; WaveLimiterHint : 1
; COMPUTE_PGM_RSRC2:SCRATCH_EN: 0
; COMPUTE_PGM_RSRC2:USER_SGPR: 6
; COMPUTE_PGM_RSRC2:TRAP_HANDLER: 0
; COMPUTE_PGM_RSRC2:TGID_X_EN: 1
; COMPUTE_PGM_RSRC2:TGID_Y_EN: 0
; COMPUTE_PGM_RSRC2:TGID_Z_EN: 0
; COMPUTE_PGM_RSRC2:TIDIG_COMP_CNT: 0
	.type	__hip_cuid_854ebdaedc0c8151,@object ; @__hip_cuid_854ebdaedc0c8151
	.section	.bss,"aw",@nobits
	.globl	__hip_cuid_854ebdaedc0c8151
__hip_cuid_854ebdaedc0c8151:
	.byte	0                               ; 0x0
	.size	__hip_cuid_854ebdaedc0c8151, 1

	.ident	"AMD clang version 19.0.0git (https://github.com/RadeonOpenCompute/llvm-project roc-6.4.0 25133 c7fe45cf4b819c5991fe208aaa96edf142730f1d)"
	.section	".note.GNU-stack","",@progbits
	.addrsig
	.addrsig_sym __hip_cuid_854ebdaedc0c8151
	.amdgpu_metadata
---
amdhsa.kernels:
  - .args:
      - .actual_access:  read_only
        .address_space:  global
        .offset:         0
        .size:           8
        .value_kind:     global_buffer
      - .offset:         8
        .size:           8
        .value_kind:     by_value
      - .actual_access:  read_only
        .address_space:  global
        .offset:         16
        .size:           8
        .value_kind:     global_buffer
      - .actual_access:  read_only
        .address_space:  global
        .offset:         24
        .size:           8
        .value_kind:     global_buffer
      - .offset:         32
        .size:           8
        .value_kind:     by_value
      - .actual_access:  read_only
        .address_space:  global
        .offset:         40
        .size:           8
        .value_kind:     global_buffer
      - .actual_access:  read_only
        .address_space:  global
        .offset:         48
        .size:           8
        .value_kind:     global_buffer
      - .offset:         56
        .size:           4
        .value_kind:     by_value
      - .actual_access:  read_only
        .address_space:  global
        .offset:         64
        .size:           8
        .value_kind:     global_buffer
      - .actual_access:  read_only
        .address_space:  global
        .offset:         72
        .size:           8
        .value_kind:     global_buffer
      - .address_space:  global
        .offset:         80
        .size:           8
        .value_kind:     global_buffer
    .group_segment_fixed_size: 0
    .kernarg_segment_align: 8
    .kernarg_segment_size: 88
    .language:       OpenCL C
    .language_version:
      - 2
      - 0
    .max_flat_workgroup_size: 108
    .name:           fft_rtc_fwd_len1728_factors_3_6_6_16_wgs_108_tpt_108_halfLds_sp_ip_CI_sbrr_dirReg
    .private_segment_fixed_size: 0
    .sgpr_count:     28
    .sgpr_spill_count: 0
    .symbol:         fft_rtc_fwd_len1728_factors_3_6_6_16_wgs_108_tpt_108_halfLds_sp_ip_CI_sbrr_dirReg.kd
    .uniform_work_group_size: 1
    .uses_dynamic_stack: false
    .vgpr_count:     76
    .vgpr_spill_count: 0
    .wavefront_size: 64
amdhsa.target:   amdgcn-amd-amdhsa--gfx906
amdhsa.version:
  - 1
  - 2
...

	.end_amdgpu_metadata
